;; amdgpu-corpus repo=ROCm/rocFFT kind=compiled arch=gfx1030 opt=O3
	.text
	.amdgcn_target "amdgcn-amd-amdhsa--gfx1030"
	.amdhsa_code_object_version 6
	.protected	fft_rtc_fwd_len1792_factors_4_4_4_4_7_wgs_224_tpt_224_halfLds_half_op_CI_CI_unitstride_sbrr_dirReg ; -- Begin function fft_rtc_fwd_len1792_factors_4_4_4_4_7_wgs_224_tpt_224_halfLds_half_op_CI_CI_unitstride_sbrr_dirReg
	.globl	fft_rtc_fwd_len1792_factors_4_4_4_4_7_wgs_224_tpt_224_halfLds_half_op_CI_CI_unitstride_sbrr_dirReg
	.p2align	8
	.type	fft_rtc_fwd_len1792_factors_4_4_4_4_7_wgs_224_tpt_224_halfLds_half_op_CI_CI_unitstride_sbrr_dirReg,@function
fft_rtc_fwd_len1792_factors_4_4_4_4_7_wgs_224_tpt_224_halfLds_half_op_CI_CI_unitstride_sbrr_dirReg: ; @fft_rtc_fwd_len1792_factors_4_4_4_4_7_wgs_224_tpt_224_halfLds_half_op_CI_CI_unitstride_sbrr_dirReg
; %bb.0:
	s_clause 0x2
	s_load_dwordx4 s[8:11], s[4:5], 0x0
	s_load_dwordx4 s[12:15], s[4:5], 0x58
	;; [unrolled: 1-line block ×3, first 2 shown]
	v_mul_u32_u24_e32 v1, 0x125, v0
	v_mov_b32_e32 v3, 0
	v_add_nc_u32_sdwa v10, s6, v1 dst_sel:DWORD dst_unused:UNUSED_PAD src0_sel:DWORD src1_sel:WORD_1
	v_mov_b32_e32 v1, 0
	v_mov_b32_e32 v11, v3
	v_mov_b32_e32 v2, 0
	s_waitcnt lgkmcnt(0)
	v_cmp_lt_u64_e64 s0, s[10:11], 2
	s_and_b32 vcc_lo, exec_lo, s0
	s_cbranch_vccnz .LBB0_8
; %bb.1:
	s_load_dwordx2 s[0:1], s[4:5], 0x10
	v_mov_b32_e32 v1, 0
	v_mov_b32_e32 v2, 0
	s_add_u32 s2, s18, 8
	s_addc_u32 s3, s19, 0
	s_add_u32 s6, s16, 8
	s_addc_u32 s7, s17, 0
	v_mov_b32_e32 v7, v2
	v_mov_b32_e32 v6, v1
	s_mov_b64 s[22:23], 1
	s_waitcnt lgkmcnt(0)
	s_add_u32 s20, s0, 8
	s_addc_u32 s21, s1, 0
.LBB0_2:                                ; =>This Inner Loop Header: Depth=1
	s_load_dwordx2 s[24:25], s[20:21], 0x0
                                        ; implicit-def: $vgpr8_vgpr9
	s_mov_b32 s0, exec_lo
	s_waitcnt lgkmcnt(0)
	v_or_b32_e32 v4, s25, v11
	v_cmpx_ne_u64_e32 0, v[3:4]
	s_xor_b32 s1, exec_lo, s0
	s_cbranch_execz .LBB0_4
; %bb.3:                                ;   in Loop: Header=BB0_2 Depth=1
	v_cvt_f32_u32_e32 v4, s24
	v_cvt_f32_u32_e32 v5, s25
	s_sub_u32 s0, 0, s24
	s_subb_u32 s26, 0, s25
	v_fmac_f32_e32 v4, 0x4f800000, v5
	v_rcp_f32_e32 v4, v4
	v_mul_f32_e32 v4, 0x5f7ffffc, v4
	v_mul_f32_e32 v5, 0x2f800000, v4
	v_trunc_f32_e32 v5, v5
	v_fmac_f32_e32 v4, 0xcf800000, v5
	v_cvt_u32_f32_e32 v5, v5
	v_cvt_u32_f32_e32 v4, v4
	v_mul_lo_u32 v8, s0, v5
	v_mul_hi_u32 v9, s0, v4
	v_mul_lo_u32 v12, s26, v4
	v_add_nc_u32_e32 v8, v9, v8
	v_mul_lo_u32 v9, s0, v4
	v_add_nc_u32_e32 v8, v8, v12
	v_mul_hi_u32 v12, v4, v9
	v_mul_lo_u32 v13, v4, v8
	v_mul_hi_u32 v14, v4, v8
	v_mul_hi_u32 v15, v5, v9
	v_mul_lo_u32 v9, v5, v9
	v_mul_hi_u32 v16, v5, v8
	v_mul_lo_u32 v8, v5, v8
	v_add_co_u32 v12, vcc_lo, v12, v13
	v_add_co_ci_u32_e32 v13, vcc_lo, 0, v14, vcc_lo
	v_add_co_u32 v9, vcc_lo, v12, v9
	v_add_co_ci_u32_e32 v9, vcc_lo, v13, v15, vcc_lo
	v_add_co_ci_u32_e32 v12, vcc_lo, 0, v16, vcc_lo
	v_add_co_u32 v8, vcc_lo, v9, v8
	v_add_co_ci_u32_e32 v9, vcc_lo, 0, v12, vcc_lo
	v_add_co_u32 v4, vcc_lo, v4, v8
	v_add_co_ci_u32_e32 v5, vcc_lo, v5, v9, vcc_lo
	v_mul_hi_u32 v8, s0, v4
	v_mul_lo_u32 v12, s26, v4
	v_mul_lo_u32 v9, s0, v5
	v_add_nc_u32_e32 v8, v8, v9
	v_mul_lo_u32 v9, s0, v4
	v_add_nc_u32_e32 v8, v8, v12
	v_mul_hi_u32 v12, v4, v9
	v_mul_lo_u32 v13, v4, v8
	v_mul_hi_u32 v14, v4, v8
	v_mul_hi_u32 v15, v5, v9
	v_mul_lo_u32 v9, v5, v9
	v_mul_hi_u32 v16, v5, v8
	v_mul_lo_u32 v8, v5, v8
	v_add_co_u32 v12, vcc_lo, v12, v13
	v_add_co_ci_u32_e32 v13, vcc_lo, 0, v14, vcc_lo
	v_add_co_u32 v9, vcc_lo, v12, v9
	v_add_co_ci_u32_e32 v9, vcc_lo, v13, v15, vcc_lo
	v_add_co_ci_u32_e32 v12, vcc_lo, 0, v16, vcc_lo
	v_add_co_u32 v8, vcc_lo, v9, v8
	v_add_co_ci_u32_e32 v9, vcc_lo, 0, v12, vcc_lo
	v_add_co_u32 v8, vcc_lo, v4, v8
	v_add_co_ci_u32_e32 v12, vcc_lo, v5, v9, vcc_lo
	v_mul_hi_u32 v14, v10, v8
	v_mad_u64_u32 v[8:9], null, v11, v8, 0
	v_mad_u64_u32 v[4:5], null, v10, v12, 0
	;; [unrolled: 1-line block ×3, first 2 shown]
	v_add_co_u32 v4, vcc_lo, v14, v4
	v_add_co_ci_u32_e32 v5, vcc_lo, 0, v5, vcc_lo
	v_add_co_u32 v4, vcc_lo, v4, v8
	v_add_co_ci_u32_e32 v4, vcc_lo, v5, v9, vcc_lo
	v_add_co_ci_u32_e32 v5, vcc_lo, 0, v13, vcc_lo
	v_add_co_u32 v8, vcc_lo, v4, v12
	v_add_co_ci_u32_e32 v9, vcc_lo, 0, v5, vcc_lo
	v_mul_lo_u32 v12, s25, v8
	v_mad_u64_u32 v[4:5], null, s24, v8, 0
	v_mul_lo_u32 v13, s24, v9
	v_sub_co_u32 v4, vcc_lo, v10, v4
	v_add3_u32 v5, v5, v13, v12
	v_sub_nc_u32_e32 v12, v11, v5
	v_subrev_co_ci_u32_e64 v12, s0, s25, v12, vcc_lo
	v_add_co_u32 v13, s0, v8, 2
	v_add_co_ci_u32_e64 v14, s0, 0, v9, s0
	v_sub_co_u32 v15, s0, v4, s24
	v_sub_co_ci_u32_e32 v5, vcc_lo, v11, v5, vcc_lo
	v_subrev_co_ci_u32_e64 v12, s0, 0, v12, s0
	v_cmp_le_u32_e32 vcc_lo, s24, v15
	v_cmp_eq_u32_e64 s0, s25, v5
	v_cndmask_b32_e64 v15, 0, -1, vcc_lo
	v_cmp_le_u32_e32 vcc_lo, s25, v12
	v_cndmask_b32_e64 v16, 0, -1, vcc_lo
	v_cmp_le_u32_e32 vcc_lo, s24, v4
	;; [unrolled: 2-line block ×3, first 2 shown]
	v_cndmask_b32_e64 v17, 0, -1, vcc_lo
	v_cmp_eq_u32_e32 vcc_lo, s25, v12
	v_cndmask_b32_e64 v4, v17, v4, s0
	v_cndmask_b32_e32 v12, v16, v15, vcc_lo
	v_add_co_u32 v15, vcc_lo, v8, 1
	v_add_co_ci_u32_e32 v16, vcc_lo, 0, v9, vcc_lo
	v_cmp_ne_u32_e32 vcc_lo, 0, v12
	v_cndmask_b32_e32 v5, v16, v14, vcc_lo
	v_cndmask_b32_e32 v12, v15, v13, vcc_lo
	v_cmp_ne_u32_e32 vcc_lo, 0, v4
	v_cndmask_b32_e32 v9, v9, v5, vcc_lo
	v_cndmask_b32_e32 v8, v8, v12, vcc_lo
.LBB0_4:                                ;   in Loop: Header=BB0_2 Depth=1
	s_andn2_saveexec_b32 s0, s1
	s_cbranch_execz .LBB0_6
; %bb.5:                                ;   in Loop: Header=BB0_2 Depth=1
	v_cvt_f32_u32_e32 v4, s24
	s_sub_i32 s1, 0, s24
	v_rcp_iflag_f32_e32 v4, v4
	v_mul_f32_e32 v4, 0x4f7ffffe, v4
	v_cvt_u32_f32_e32 v4, v4
	v_mul_lo_u32 v5, s1, v4
	v_mul_hi_u32 v5, v4, v5
	v_add_nc_u32_e32 v4, v4, v5
	v_mul_hi_u32 v4, v10, v4
	v_mul_lo_u32 v5, v4, s24
	v_add_nc_u32_e32 v8, 1, v4
	v_sub_nc_u32_e32 v5, v10, v5
	v_subrev_nc_u32_e32 v9, s24, v5
	v_cmp_le_u32_e32 vcc_lo, s24, v5
	v_cndmask_b32_e32 v5, v5, v9, vcc_lo
	v_cndmask_b32_e32 v4, v4, v8, vcc_lo
	v_mov_b32_e32 v9, v3
	v_cmp_le_u32_e32 vcc_lo, s24, v5
	v_add_nc_u32_e32 v8, 1, v4
	v_cndmask_b32_e32 v8, v4, v8, vcc_lo
.LBB0_6:                                ;   in Loop: Header=BB0_2 Depth=1
	s_or_b32 exec_lo, exec_lo, s0
	v_mul_lo_u32 v12, v9, s24
	v_mul_lo_u32 v13, v8, s25
	s_load_dwordx2 s[0:1], s[6:7], 0x0
	v_mad_u64_u32 v[4:5], null, v8, s24, 0
	s_load_dwordx2 s[24:25], s[2:3], 0x0
	s_add_u32 s22, s22, 1
	s_addc_u32 s23, s23, 0
	s_add_u32 s2, s2, 8
	s_addc_u32 s3, s3, 0
	s_add_u32 s6, s6, 8
	v_add3_u32 v5, v5, v13, v12
	v_sub_co_u32 v4, vcc_lo, v10, v4
	s_addc_u32 s7, s7, 0
	s_add_u32 s20, s20, 8
	v_sub_co_ci_u32_e32 v5, vcc_lo, v11, v5, vcc_lo
	s_addc_u32 s21, s21, 0
	s_waitcnt lgkmcnt(0)
	v_mul_lo_u32 v10, s0, v5
	v_mul_lo_u32 v11, s1, v4
	v_mad_u64_u32 v[1:2], null, s0, v4, v[1:2]
	v_mul_lo_u32 v5, s24, v5
	v_mul_lo_u32 v12, s25, v4
	v_mad_u64_u32 v[6:7], null, s24, v4, v[6:7]
	v_cmp_ge_u64_e64 s0, s[22:23], s[10:11]
	v_add3_u32 v2, v11, v2, v10
	v_add3_u32 v7, v12, v7, v5
	s_and_b32 vcc_lo, exec_lo, s0
	s_cbranch_vccnz .LBB0_9
; %bb.7:                                ;   in Loop: Header=BB0_2 Depth=1
	v_mov_b32_e32 v11, v9
	v_mov_b32_e32 v10, v8
	s_branch .LBB0_2
.LBB0_8:
	v_mov_b32_e32 v7, v2
	v_mov_b32_e32 v8, v10
	;; [unrolled: 1-line block ×4, first 2 shown]
.LBB0_9:
	s_load_dwordx2 s[0:1], s[4:5], 0x28
	v_mul_hi_u32 v15, 0x124924a, v0
	s_lshl_b64 s[4:5], s[10:11], 3
                                        ; implicit-def: $sgpr6
                                        ; implicit-def: $vgpr10
	s_add_u32 s2, s18, s4
	s_addc_u32 s3, s19, s5
	s_waitcnt lgkmcnt(0)
	v_cmp_gt_u64_e32 vcc_lo, s[0:1], v[8:9]
	v_cmp_le_u64_e64 s0, s[0:1], v[8:9]
	s_and_saveexec_b32 s1, s0
	s_xor_b32 s0, exec_lo, s1
; %bb.10:
	v_mul_u32_u24_e32 v1, 0xe0, v15
	s_mov_b32 s6, 0
                                        ; implicit-def: $vgpr15
	v_sub_nc_u32_e32 v10, v0, v1
                                        ; implicit-def: $vgpr0
                                        ; implicit-def: $vgpr1_vgpr2
; %bb.11:
	s_or_saveexec_b32 s1, s0
	v_mov_b32_e32 v11, s6
	v_mov_b32_e32 v16, s6
	;; [unrolled: 1-line block ×4, first 2 shown]
                                        ; implicit-def: $vgpr19
                                        ; implicit-def: $vgpr17
                                        ; implicit-def: $vgpr20
                                        ; implicit-def: $vgpr18
                                        ; implicit-def: $vgpr12
                                        ; implicit-def: $vgpr14
                                        ; implicit-def: $vgpr13
                                        ; implicit-def: $vgpr5
	s_xor_b32 exec_lo, exec_lo, s1
	s_cbranch_execz .LBB0_13
; %bb.12:
	s_add_u32 s4, s16, s4
	s_addc_u32 s5, s17, s5
	v_lshlrev_b64 v[1:2], 2, v[1:2]
	s_load_dwordx2 s[4:5], s[4:5], 0x0
	s_waitcnt lgkmcnt(0)
	v_mul_lo_u32 v5, s5, v8
	v_mul_lo_u32 v10, s4, v9
	v_mad_u64_u32 v[3:4], null, s4, v8, 0
	v_add3_u32 v4, v4, v10, v5
	v_mul_u32_u24_e32 v5, 0xe0, v15
	v_lshlrev_b64 v[3:4], 2, v[3:4]
	v_sub_nc_u32_e32 v10, v0, v5
	v_add_co_u32 v0, s0, s12, v3
	v_add_co_ci_u32_e64 v3, s0, s13, v4, s0
	v_lshlrev_b32_e32 v4, 2, v10
	v_add_co_u32 v0, s0, v0, v1
	v_add_co_ci_u32_e64 v1, s0, v3, v2, s0
	v_add_co_u32 v0, s0, v0, v4
	v_add_co_ci_u32_e64 v1, s0, 0, v1, s0
	;; [unrolled: 2-line block ×5, first 2 shown]
	s_clause 0x7
	global_load_dword v17, v[2:3], off offset:1536
	global_load_dword v5, v[4:5], off offset:128
	;; [unrolled: 1-line block ×4, first 2 shown]
	global_load_dword v11, v[0:1], off
	global_load_dword v3, v[2:3], off offset:640
	global_load_dword v16, v[0:1], off offset:1792
	global_load_dword v4, v[0:1], off offset:896
	s_waitcnt vmcnt(7)
	v_lshrrev_b32_e32 v19, 16, v17
	s_waitcnt vmcnt(6)
	v_lshrrev_b32_e32 v13, 16, v5
	;; [unrolled: 2-line block ×4, first 2 shown]
.LBB0_13:
	s_or_b32 exec_lo, exec_lo, s1
	s_waitcnt vmcnt(3)
	v_sub_f16_e32 v2, v11, v17
	s_waitcnt vmcnt(1)
	v_sub_f16_e32 v15, v16, v18
	v_lshrrev_b32_e32 v0, 16, v11
	v_lshrrev_b32_e32 v1, 16, v16
	s_waitcnt vmcnt(0)
	v_sub_f16_e32 v14, v4, v14
	v_fma_f16 v11, v11, 2.0, -v2
	v_fma_f16 v16, v16, 2.0, -v15
	v_sub_f16_e32 v17, v0, v19
	v_sub_f16_e32 v18, v1, v20
	v_lshrrev_b32_e32 v19, 16, v4
	v_lshrrev_b32_e32 v20, 16, v3
	v_sub_f16_e32 v16, v11, v16
	v_sub_f16_e32 v5, v3, v5
	v_fma_f16 v0, v0, 2.0, -v17
	v_fma_f16 v1, v1, 2.0, -v18
	v_sub_f16_e32 v21, v19, v12
	v_fma_f16 v4, v4, 2.0, -v14
	v_fma_f16 v22, v11, 2.0, -v16
	v_sub_f16_e32 v11, v20, v13
	v_fma_f16 v3, v3, 2.0, -v5
	v_sub_f16_e32 v13, v2, v18
	v_sub_f16_e32 v1, v0, v1
	v_add_f16_e32 v15, v17, v15
	v_fma_f16 v18, v19, 2.0, -v21
	v_fma_f16 v12, v20, 2.0, -v11
	v_sub_f16_e32 v3, v4, v3
	v_fma_f16 v2, v2, 2.0, -v13
	v_sub_f16_e32 v19, v14, v11
	v_fma_f16 v0, v0, 2.0, -v1
	v_fma_f16 v17, v17, 2.0, -v15
	v_sub_f16_e32 v20, v18, v12
	v_fma_f16 v4, v4, 2.0, -v3
	v_add_f16_e32 v5, v21, v5
	v_add_nc_u32_e32 v11, 0xe0, v10
	v_fma_f16 v14, v14, 2.0, -v19
	v_lshl_add_u32 v12, v10, 3, 0
	v_pack_b32_f16 v13, v16, v13
	v_pack_b32_f16 v2, v22, v2
	v_and_b32_e32 v26, 3, v10
	v_lshl_add_u32 v16, v11, 3, 0
	v_pack_b32_f16 v3, v3, v19
	v_pack_b32_f16 v4, v4, v14
	v_fma_f16 v14, v18, 2.0, -v20
	v_fma_f16 v18, v21, 2.0, -v5
	ds_write2_b32 v12, v2, v13 offset1:1
	v_mad_i32_i24 v13, v10, -6, v12
	v_pack_b32_f16 v1, v1, v15
	v_pack_b32_f16 v0, v0, v17
	;; [unrolled: 1-line block ×3, first 2 shown]
	v_mul_u32_u24_e32 v5, 3, v26
	s_load_dwordx2 s[2:3], s[2:3], 0x0
	ds_write2_b32 v16, v4, v3 offset1:1
	s_waitcnt lgkmcnt(0)
	s_barrier
	buffer_gl0_inv
	ds_read_u16 v3, v13
	ds_read_u16 v4, v13 offset:3136
	ds_read_u16 v19, v13 offset:2688
	;; [unrolled: 1-line block ×7, first 2 shown]
	s_waitcnt lgkmcnt(0)
	v_pack_b32_f16 v14, v14, v18
	s_barrier
	buffer_gl0_inv
	ds_write2_b32 v12, v0, v1 offset1:1
	v_lshlrev_b32_e32 v0, 2, v5
	ds_write2_b32 v16, v14, v2 offset1:1
	s_waitcnt lgkmcnt(0)
	s_barrier
	buffer_gl0_inv
	global_load_dwordx3 v[0:2], v0, s[8:9]
	ds_read_u16 v15, v13 offset:896
	ds_read_u16 v16, v13 offset:1792
	;; [unrolled: 1-line block ×6, first 2 shown]
	ds_read_u16 v31, v13
	ds_read_u16 v32, v13 offset:448
	v_lshlrev_b32_e32 v14, 2, v10
	v_and_b32_e32 v5, 15, v10
	v_lshlrev_b32_e32 v20, 2, v11
	s_waitcnt vmcnt(0) lgkmcnt(0)
	s_barrier
	v_and_or_b32 v29, 0x3f0, v14, v26
	v_mul_u32_u24_e32 v30, 3, v5
	v_and_or_b32 v26, 0x7f0, v20, v26
	buffer_gl0_inv
	v_cmp_gt_u32_e64 s0, 32, v10
	v_lshl_add_u32 v29, v29, 1, 0
	v_lshlrev_b32_e32 v30, 2, v30
	v_lshl_add_u32 v26, v26, 1, 0
	v_mul_f16_sdwa v33, v15, v0 dst_sel:DWORD dst_unused:UNUSED_PAD src0_sel:DWORD src1_sel:WORD_1
	v_mul_f16_sdwa v34, v24, v0 dst_sel:DWORD dst_unused:UNUSED_PAD src0_sel:DWORD src1_sel:WORD_1
	;; [unrolled: 1-line block ×12, first 2 shown]
	v_fma_f16 v24, v24, v0, -v33
	v_fmac_f16_e32 v34, v15, v0
	v_fma_f16 v15, v22, v1, -v35
	v_fmac_f16_e32 v36, v16, v1
	;; [unrolled: 2-line block ×6, first 2 shown]
	v_sub_f16_e32 v2, v3, v15
	v_sub_f16_e32 v4, v31, v36
	;; [unrolled: 1-line block ×8, first 2 shown]
	v_fma_f16 v21, v31, 2.0, -v4
	v_fma_f16 v23, v34, 2.0, -v16
	;; [unrolled: 1-line block ×8, first 2 shown]
	v_sub_f16_e32 v16, v2, v16
	v_sub_f16_e32 v23, v21, v23
	v_add_f16_e32 v15, v4, v15
	v_sub_f16_e32 v22, v3, v22
	v_sub_f16_e32 v18, v24, v18
	;; [unrolled: 1-line block ×4, first 2 shown]
	v_add_f16_e32 v1, v17, v1
	v_fma_f16 v2, v2, 2.0, -v16
	ds_write_b16 v29, v16 offset:24
	v_fma_f16 v16, v21, 2.0, -v23
	v_fma_f16 v4, v4, 2.0, -v15
	;; [unrolled: 1-line block ×7, first 2 shown]
	ds_write_b16 v29, v2 offset:8
	ds_write_b16 v29, v22 offset:16
	ds_write_b16 v29, v3
	ds_write_b16 v26, v21
	ds_write_b16 v26, v0 offset:8
	ds_write_b16 v26, v18 offset:16
	ds_write_b16 v26, v19 offset:24
	s_waitcnt lgkmcnt(0)
	s_barrier
	buffer_gl0_inv
	ds_read_u16 v3, v13
	ds_read_u16 v18, v13 offset:3136
	ds_read_u16 v19, v13 offset:2688
	;; [unrolled: 1-line block ×7, first 2 shown]
	s_waitcnt lgkmcnt(0)
	s_barrier
	buffer_gl0_inv
	ds_write_b16 v29, v16
	ds_write_b16 v29, v4 offset:8
	ds_write_b16 v29, v23 offset:16
	;; [unrolled: 1-line block ×3, first 2 shown]
	ds_write_b16 v26, v24
	ds_write_b16 v26, v17 offset:8
	ds_write_b16 v26, v27 offset:16
	;; [unrolled: 1-line block ×3, first 2 shown]
	s_waitcnt lgkmcnt(0)
	s_barrier
	buffer_gl0_inv
	global_load_dwordx3 v[0:2], v30, s[8:9] offset:48
	ds_read_u16 v16, v13 offset:896
	ds_read_u16 v17, v13 offset:1792
	;; [unrolled: 1-line block ×6, first 2 shown]
	ds_read_u16 v33, v13
	ds_read_u16 v34, v13 offset:448
	v_and_b32_e32 v15, 63, v10
	v_and_or_b32 v4, 0x3c0, v14, v5
	v_and_b32_e32 v23, 63, v11
	v_and_or_b32 v5, 0x7c0, v20, v5
	s_waitcnt vmcnt(0) lgkmcnt(0)
	v_mul_u32_u24_e32 v30, 3, v15
	v_lshl_add_u32 v4, v4, 1, 0
	v_mul_u32_u24_e32 v32, 3, v23
	s_barrier
	buffer_gl0_inv
	v_lshlrev_b32_e32 v30, 2, v30
	v_lshl_add_u32 v5, v5, 1, 0
	v_lshlrev_b32_e32 v32, 2, v32
	v_and_or_b32 v14, 0x300, v14, v15
	v_and_or_b32 v15, 0x700, v20, v23
	v_lshl_add_u32 v20, v15, 1, 0
	v_mul_f16_sdwa v36, v28, v0 dst_sel:DWORD dst_unused:UNUSED_PAD src0_sel:DWORD src1_sel:WORD_1
	v_mul_f16_sdwa v37, v17, v1 dst_sel:DWORD dst_unused:UNUSED_PAD src0_sel:DWORD src1_sel:WORD_1
	;; [unrolled: 1-line block ×12, first 2 shown]
	v_fmac_f16_e32 v36, v16, v0
	v_fma_f16 v16, v22, v1, -v37
	v_fmac_f16_e32 v38, v17, v1
	v_fmac_f16_e32 v40, v26, v2
	v_fma_f16 v28, v28, v0, -v35
	v_fma_f16 v17, v19, v2, -v39
	;; [unrolled: 1-line block ×3, first 2 shown]
	v_fmac_f16_e32 v42, v29, v0
	v_fma_f16 v0, v21, v1, -v43
	v_fmac_f16_e32 v44, v27, v1
	v_fma_f16 v1, v18, v2, -v45
	v_fmac_f16_e32 v46, v24, v2
	v_sub_f16_e32 v2, v3, v16
	v_sub_f16_e32 v16, v33, v38
	;; [unrolled: 1-line block ×8, first 2 shown]
	v_fma_f16 v24, v33, 2.0, -v16
	v_fma_f16 v26, v36, 2.0, -v18
	;; [unrolled: 1-line block ×4, first 2 shown]
	v_add_f16_e32 v27, v16, v17
	v_fma_f16 v17, v31, 2.0, -v0
	v_fma_f16 v19, v19, 2.0, -v1
	;; [unrolled: 1-line block ×4, first 2 shown]
	v_sub_f16_e32 v18, v2, v18
	v_sub_f16_e32 v26, v24, v26
	;; [unrolled: 1-line block ×3, first 2 shown]
	v_fma_f16 v31, v16, 2.0, -v27
	v_sub_f16_e32 v16, v17, v19
	v_sub_f16_e32 v22, v0, v22
	v_sub_f16_e32 v19, v28, v29
	v_add_f16_e32 v1, v21, v1
	v_fma_f16 v2, v2, 2.0, -v18
	ds_write_b16 v4, v18 offset:96
	v_fma_f16 v18, v24, 2.0, -v26
	v_fma_f16 v3, v3, 2.0, -v25
	;; [unrolled: 1-line block ×6, first 2 shown]
	ds_write_b16 v4, v2 offset:32
	ds_write_b16 v4, v25 offset:64
	ds_write_b16 v4, v3
	ds_write_b16 v5, v17
	ds_write_b16 v5, v0 offset:32
	ds_write_b16 v5, v16 offset:64
	;; [unrolled: 1-line block ×3, first 2 shown]
	s_waitcnt lgkmcnt(0)
	s_barrier
	buffer_gl0_inv
	ds_read_u16 v22, v13
	ds_read_u16 v25, v13 offset:3136
	ds_read_u16 v28, v13 offset:2688
	;; [unrolled: 1-line block ×7, first 2 shown]
	s_waitcnt lgkmcnt(0)
	s_barrier
	buffer_gl0_inv
	ds_write_b16 v4, v18
	ds_write_b16 v4, v31 offset:32
	ds_write_b16 v4, v26 offset:64
	;; [unrolled: 1-line block ×3, first 2 shown]
	ds_write_b16 v5, v24
	ds_write_b16 v5, v21 offset:32
	ds_write_b16 v5, v19 offset:64
	ds_write_b16 v5, v1 offset:96
	s_waitcnt lgkmcnt(0)
	s_barrier
	buffer_gl0_inv
	s_clause 0x1
	global_load_dwordx3 v[3:5], v30, s[8:9] offset:240
	global_load_dwordx3 v[0:2], v32, s[8:9] offset:240
	ds_read_u16 v24, v13 offset:896
	ds_read_u16 v18, v13 offset:1792
	;; [unrolled: 1-line block ×6, first 2 shown]
	v_lshl_add_u32 v21, v14, 1, 0
	ds_read_u16 v29, v13
	ds_read_u16 v30, v13 offset:448
	s_waitcnt vmcnt(0) lgkmcnt(0)
	s_barrier
	buffer_gl0_inv
	v_mul_f16_sdwa v14, v24, v3 dst_sel:DWORD dst_unused:UNUSED_PAD src0_sel:DWORD src1_sel:WORD_1
	v_mul_f16_sdwa v31, v34, v3 dst_sel:DWORD dst_unused:UNUSED_PAD src0_sel:DWORD src1_sel:WORD_1
	v_mul_f16_sdwa v15, v18, v4 dst_sel:DWORD dst_unused:UNUSED_PAD src0_sel:DWORD src1_sel:WORD_1
	v_mul_f16_sdwa v23, v27, v5 dst_sel:DWORD dst_unused:UNUSED_PAD src0_sel:DWORD src1_sel:WORD_1
	v_mul_f16_sdwa v37, v28, v5 dst_sel:DWORD dst_unused:UNUSED_PAD src0_sel:DWORD src1_sel:WORD_1
	v_mul_f16_sdwa v38, v36, v0 dst_sel:DWORD dst_unused:UNUSED_PAD src0_sel:DWORD src1_sel:WORD_1
	v_mul_f16_sdwa v32, v33, v0 dst_sel:DWORD dst_unused:UNUSED_PAD src0_sel:DWORD src1_sel:WORD_1
	v_mul_f16_sdwa v39, v19, v1 dst_sel:DWORD dst_unused:UNUSED_PAD src0_sel:DWORD src1_sel:WORD_1
	v_mul_f16_sdwa v40, v26, v2 dst_sel:DWORD dst_unused:UNUSED_PAD src0_sel:DWORD src1_sel:WORD_1
	v_fma_f16 v14, v34, v3, -v14
	v_fmac_f16_e32 v31, v24, v3
	v_fma_f16 v3, v17, v4, -v15
	v_fma_f16 v15, v28, v5, -v23
	v_fmac_f16_e32 v37, v27, v5
	v_fma_f16 v5, v33, v0, -v38
	v_fmac_f16_e32 v32, v36, v0
	v_fma_f16 v0, v16, v1, -v39
	v_fma_f16 v23, v25, v2, -v40
	v_mul_f16_sdwa v41, v25, v2 dst_sel:DWORD dst_unused:UNUSED_PAD src0_sel:DWORD src1_sel:WORD_1
	v_sub_f16_e32 v3, v22, v3
	v_sub_f16_e32 v33, v14, v15
	;; [unrolled: 1-line block ×4, first 2 shown]
	v_fmac_f16_e32 v41, v26, v2
	v_sub_f16_e32 v36, v31, v37
	v_fma_f16 v15, v22, 2.0, -v3
	v_fma_f16 v14, v14, 2.0, -v33
	;; [unrolled: 1-line block ×4, first 2 shown]
	v_sub_f16_e32 v37, v32, v41
	v_sub_f16_e32 v23, v3, v36
	;; [unrolled: 1-line block ×5, first 2 shown]
	v_fma_f16 v3, v3, 2.0, -v23
	v_fma_f16 v15, v15, 2.0, -v14
	;; [unrolled: 1-line block ×4, first 2 shown]
	ds_write_b16 v21, v23 offset:384
	ds_write_b16 v21, v3 offset:128
	ds_write_b16 v21, v14 offset:256
	ds_write_b16 v21, v15
	ds_write_b16 v20, v22
	ds_write_b16 v20, v0 offset:128
	ds_write_b16 v20, v5 offset:256
	;; [unrolled: 1-line block ×3, first 2 shown]
	s_waitcnt lgkmcnt(0)
	s_barrier
	buffer_gl0_inv
	ds_read_u16 v22, v13
	ds_read_u16 v26, v13 offset:512
	ds_read_u16 v23, v13 offset:1024
	;; [unrolled: 1-line block ×6, first 2 shown]
	v_mul_i32_i24_e32 v0, -6, v10
                                        ; implicit-def: $vgpr13
                                        ; implicit-def: $vgpr5
                                        ; implicit-def: $vgpr14
                                        ; implicit-def: $vgpr3
                                        ; implicit-def: $vgpr15
	v_add_nc_u32_e32 v35, v12, v0
	v_lshl_add_u32 v0, v10, 1, 0
                                        ; implicit-def: $vgpr12
	s_and_saveexec_b32 s1, s0
	s_cbranch_execz .LBB0_15
; %bb.14:
	ds_read_u16 v2, v35 offset:448
	ds_read_u16 v12, v0 offset:960
	;; [unrolled: 1-line block ×7, first 2 shown]
.LBB0_15:
	s_or_b32 exec_lo, exec_lo, s1
	v_mul_f16_sdwa v17, v17, v4 dst_sel:DWORD dst_unused:UNUSED_PAD src0_sel:DWORD src1_sel:WORD_1
	v_mul_f16_sdwa v16, v16, v1 dst_sel:DWORD dst_unused:UNUSED_PAD src0_sel:DWORD src1_sel:WORD_1
	s_waitcnt lgkmcnt(0)
	s_barrier
	buffer_gl0_inv
	v_fmac_f16_e32 v17, v18, v4
	v_fmac_f16_e32 v16, v19, v1
	v_fma_f16 v18, v32, 2.0, -v37
	v_sub_f16_e32 v1, v29, v17
	v_sub_f16_e32 v16, v30, v16
	v_fma_f16 v17, v31, 2.0, -v36
	v_fma_f16 v19, v29, 2.0, -v1
	;; [unrolled: 1-line block ×3, first 2 shown]
	v_add_f16_e32 v30, v1, v33
	v_add_f16_e32 v4, v16, v34
	v_sub_f16_e32 v17, v19, v17
	v_sub_f16_e32 v18, v29, v18
	v_fma_f16 v1, v1, 2.0, -v30
	v_fma_f16 v16, v16, 2.0, -v4
	;; [unrolled: 1-line block ×4, first 2 shown]
	ds_write_b16 v21, v30 offset:384
	ds_write_b16 v21, v1 offset:128
	;; [unrolled: 1-line block ×3, first 2 shown]
	ds_write_b16 v21, v19
	ds_write_b16 v20, v29
	ds_write_b16 v20, v16 offset:128
	ds_write_b16 v20, v18 offset:256
	;; [unrolled: 1-line block ×3, first 2 shown]
	s_waitcnt lgkmcnt(0)
	s_barrier
	buffer_gl0_inv
	ds_read_u16 v1, v35
	ds_read_u16 v30, v35 offset:512
	ds_read_u16 v29, v35 offset:1024
	;; [unrolled: 1-line block ×6, first 2 shown]
                                        ; implicit-def: $vgpr18
                                        ; implicit-def: $vgpr16
                                        ; implicit-def: $vgpr19
                                        ; implicit-def: $vgpr17
                                        ; implicit-def: $vgpr20
                                        ; implicit-def: $vgpr21
	s_and_saveexec_b32 s1, s0
	s_cbranch_execz .LBB0_17
; %bb.16:
	ds_read_u16 v4, v35 offset:448
	ds_read_u16 v21, v0 offset:960
	;; [unrolled: 1-line block ×7, first 2 shown]
.LBB0_17:
	s_or_b32 exec_lo, exec_lo, s1
	s_and_saveexec_b32 s0, vcc_lo
	s_cbranch_execz .LBB0_20
; %bb.18:
	v_mul_u32_u24_e32 v0, 6, v10
	v_mul_lo_u32 v41, s2, v9
	v_lshlrev_b32_e32 v42, 2, v10
	v_lshlrev_b64 v[6:7], 2, v[6:7]
	v_lshlrev_b32_e32 v0, 2, v0
	s_clause 0x1
	global_load_dwordx4 v[35:38], v0, s[8:9] offset:1008
	global_load_dwordx2 v[39:40], v0, s[8:9] offset:1024
	v_mul_lo_u32 v0, s3, v8
	v_mad_u64_u32 v[8:9], null, s2, v8, 0
	v_add3_u32 v9, v9, v41, v0
	v_and_b32_e32 v41, 0x3fc, v42
	v_add_nc_u32_e32 v0, 0xe0, v10
	v_lshlrev_b64 v[8:9], 2, v[8:9]
	v_or_b32_e32 v42, 0x800, v41
	v_or_b32_e32 v43, 0xc00, v41
	;; [unrolled: 1-line block ×5, first 2 shown]
	v_add_co_u32 v8, s0, s14, v8
	v_add_co_ci_u32_e64 v9, s0, s15, v9, s0
	v_cmp_gt_u32_e32 vcc_lo, 0x100, v0
	v_add_co_u32 v6, s0, v8, v6
	v_add_co_ci_u32_e64 v7, s0, v9, v7, s0
	v_add_co_u32 v8, s0, v6, v41
	v_add_co_ci_u32_e64 v9, s0, 0, v7, s0
	;; [unrolled: 2-line block ×7, first 2 shown]
	s_waitcnt vmcnt(1) lgkmcnt(5)
	v_mul_f16_sdwa v51, v30, v35 dst_sel:DWORD dst_unused:UNUSED_PAD src0_sel:DWORD src1_sel:WORD_1
	s_waitcnt vmcnt(0) lgkmcnt(0)
	v_mul_f16_sdwa v52, v34, v40 dst_sel:DWORD dst_unused:UNUSED_PAD src0_sel:DWORD src1_sel:WORD_1
	v_mul_f16_sdwa v55, v29, v36 dst_sel:DWORD dst_unused:UNUSED_PAD src0_sel:DWORD src1_sel:WORD_1
	;; [unrolled: 1-line block ×11, first 2 shown]
	v_fma_f16 v26, v26, v35, -v51
	v_fma_f16 v28, v28, v40, -v52
	;; [unrolled: 1-line block ×4, first 2 shown]
	v_fmac_f16_e32 v57, v34, v40
	v_fmac_f16_e32 v58, v30, v35
	;; [unrolled: 1-line block ×4, first 2 shown]
	v_fma_f16 v27, v27, v38, -v53
	v_fma_f16 v24, v24, v37, -v54
	v_fmac_f16_e32 v59, v31, v37
	v_fmac_f16_e32 v60, v32, v38
	v_sub_f16_e32 v29, v26, v28
	v_sub_f16_e32 v31, v23, v25
	v_add_f16_e32 v32, v58, v57
	v_add_f16_e32 v34, v62, v61
	;; [unrolled: 1-line block ×4, first 2 shown]
	v_sub_f16_e32 v30, v27, v24
	v_add_f16_e32 v33, v60, v59
	v_add_f16_e32 v24, v27, v24
	v_sub_f16_e32 v25, v58, v57
	v_sub_f16_e32 v27, v60, v59
	v_sub_f16_e32 v28, v62, v61
	v_add_f16_e32 v39, v32, v34
	v_add_f16_e32 v52, v26, v23
	v_sub_f16_e32 v35, v29, v30
	v_sub_f16_e32 v36, v30, v31
	v_add_f16_e32 v30, v30, v31
	v_sub_f16_e32 v37, v32, v33
	v_sub_f16_e32 v38, v33, v34
	;; [unrolled: 1-line block ×6, first 2 shown]
	v_add_f16_e32 v27, v27, v28
	v_sub_f16_e32 v31, v31, v29
	v_sub_f16_e32 v23, v23, v26
	;; [unrolled: 1-line block ×3, first 2 shown]
	v_add_f16_e32 v33, v33, v39
	v_add_f16_e32 v24, v24, v52
	v_sub_f16_e32 v32, v34, v32
	v_mul_f16_e32 v28, 0xb846, v36
	v_mul_f16_e32 v34, 0x2b26, v38
	;; [unrolled: 1-line block ×5, first 2 shown]
	v_add_f16_e32 v25, v25, v27
	v_mul_f16_e32 v27, 0x3b00, v31
	v_mul_f16_e32 v51, 0x3b00, v26
	v_add_f16_e32 v1, v1, v33
	v_add_f16_e32 v22, v22, v24
	;; [unrolled: 1-line block ×3, first 2 shown]
	v_mul_f16_e32 v30, 0x3a52, v37
	v_fmamk_f16 v52, v35, 0x3574, v28
	v_fmamk_f16 v37, v37, 0x3a52, v34
	;; [unrolled: 1-line block ×4, first 2 shown]
	v_fma_f16 v27, v35, 0xb574, -v27
	v_fma_f16 v35, v23, 0xb9e0, -v36
	;; [unrolled: 1-line block ×5, first 2 shown]
	v_fmamk_f16 v31, v33, 0xbcab, v1
	v_fmamk_f16 v24, v24, 0xbcab, v22
	v_fma_f16 v30, v32, 0xb9e0, -v30
	v_fma_f16 v32, v32, 0x39e0, -v34
	;; [unrolled: 1-line block ×3, first 2 shown]
	v_fmac_f16_e32 v52, 0x370e, v29
	v_fmac_f16_e32 v54, 0x370e, v25
	;; [unrolled: 1-line block ×4, first 2 shown]
	v_pack_b32_f16 v1, v22, v1
	v_add_f16_e32 v22, v37, v31
	v_add_f16_e32 v25, v40, v24
	v_fmac_f16_e32 v27, 0x370e, v29
	v_fmac_f16_e32 v28, 0x370e, v29
	v_add_f16_e32 v29, v30, v31
	v_add_f16_e32 v30, v35, v24
	v_add_f16_e32 v31, v32, v31
	v_add_f16_e32 v23, v23, v24
	global_store_dword v[8:9], v1, off
	v_add_f16_e32 v1, v52, v22
	v_sub_f16_e32 v24, v25, v54
	v_sub_f16_e32 v22, v22, v52
	v_add_f16_e32 v25, v54, v25
	v_add_f16_e32 v32, v27, v29
	v_sub_f16_e32 v27, v29, v27
	v_add_f16_e32 v29, v36, v30
	v_sub_f16_e32 v33, v31, v28
	;; [unrolled: 2-line block ×4, first 2 shown]
	v_pack_b32_f16 v22, v25, v22
	v_pack_b32_f16 v25, v29, v27
	;; [unrolled: 1-line block ×6, first 2 shown]
	global_store_dword v[8:9], v22, off offset:1024
	global_store_dword v[41:42], v25, off
	global_store_dword v[43:44], v27, off
	;; [unrolled: 1-line block ×5, first 2 shown]
	s_and_b32 exec_lo, exec_lo, vcc_lo
	s_cbranch_execz .LBB0_20
; %bb.19:
	v_mov_b32_e32 v1, 6
	v_mul_u32_u24_sdwa v1, v11, v1 dst_sel:DWORD dst_unused:UNUSED_PAD src0_sel:BYTE_0 src1_sel:DWORD
	v_lshlrev_b32_e32 v1, 2, v1
	s_clause 0x1
	global_load_dwordx4 v[22:25], v1, s[8:9] offset:1008
	global_load_dwordx2 v[8:9], v1, s[8:9] offset:1024
	v_mov_b32_e32 v1, 0
	v_lshlrev_b64 v[26:27], 2, v[0:1]
	v_add_nc_u32_e32 v0, 0x1e0, v10
	v_lshlrev_b64 v[28:29], 2, v[0:1]
	v_add_nc_u32_e32 v0, 0x2e0, v10
	v_add_co_u32 v26, vcc_lo, v6, v26
	v_add_co_ci_u32_e32 v27, vcc_lo, v7, v27, vcc_lo
	v_lshlrev_b64 v[30:31], 2, v[0:1]
	v_add_nc_u32_e32 v0, 0x3e0, v10
	v_add_co_u32 v28, vcc_lo, v6, v28
	v_add_co_ci_u32_e32 v29, vcc_lo, v7, v29, vcc_lo
	;; [unrolled: 4-line block ×5, first 2 shown]
	v_lshlrev_b64 v[0:1], 2, v[0:1]
	v_add_co_u32 v34, vcc_lo, v6, v36
	v_add_co_ci_u32_e32 v35, vcc_lo, v7, v37, vcc_lo
	v_add_co_u32 v0, vcc_lo, v6, v0
	v_add_co_ci_u32_e32 v1, vcc_lo, v7, v1, vcc_lo
	s_waitcnt vmcnt(1)
	v_mul_f16_sdwa v6, v21, v22 dst_sel:DWORD dst_unused:UNUSED_PAD src0_sel:DWORD src1_sel:WORD_1
	v_mul_f16_sdwa v7, v12, v22 dst_sel:DWORD dst_unused:UNUSED_PAD src0_sel:DWORD src1_sel:WORD_1
	;; [unrolled: 1-line block ×4, first 2 shown]
	s_waitcnt vmcnt(0)
	v_mul_f16_sdwa v42, v17, v8 dst_sel:DWORD dst_unused:UNUSED_PAD src0_sel:DWORD src1_sel:WORD_1
	v_mul_f16_sdwa v43, v3, v8 dst_sel:DWORD dst_unused:UNUSED_PAD src0_sel:DWORD src1_sel:WORD_1
	;; [unrolled: 1-line block ×8, first 2 shown]
	v_fma_f16 v6, v12, v22, -v6
	v_fmac_f16_e32 v7, v21, v22
	v_fma_f16 v12, v13, v23, -v36
	v_fmac_f16_e32 v37, v18, v23
	v_fma_f16 v14, v14, v9, -v44
	v_fmac_f16_e32 v45, v19, v9
	v_fma_f16 v3, v3, v8, -v42
	v_fmac_f16_e32 v43, v17, v8
	v_fma_f16 v13, v15, v24, -v38
	v_fmac_f16_e32 v39, v20, v24
	v_fma_f16 v5, v5, v25, -v40
	v_fmac_f16_e32 v41, v16, v25
	v_add_f16_e32 v8, v6, v14
	v_add_f16_e32 v9, v7, v45
	v_sub_f16_e32 v6, v6, v14
	v_add_f16_e32 v14, v12, v3
	v_add_f16_e32 v15, v37, v43
	v_sub_f16_e32 v3, v12, v3
	v_sub_f16_e32 v12, v37, v43
	v_add_f16_e32 v16, v13, v5
	v_add_f16_e32 v17, v39, v41
	v_sub_f16_e32 v5, v5, v13
	;; [unrolled: 4-line block ×3, first 2 shown]
	v_sub_f16_e32 v20, v14, v8
	v_sub_f16_e32 v21, v15, v9
	;; [unrolled: 1-line block ×6, first 2 shown]
	v_add_f16_e32 v22, v5, v3
	v_add_f16_e32 v23, v13, v12
	v_sub_f16_e32 v24, v5, v3
	v_sub_f16_e32 v25, v13, v12
	;; [unrolled: 1-line block ×3, first 2 shown]
	v_add_f16_e32 v16, v16, v18
	v_add_f16_e32 v17, v17, v19
	v_sub_f16_e32 v12, v12, v7
	v_sub_f16_e32 v5, v6, v5
	;; [unrolled: 1-line block ×3, first 2 shown]
	v_add_f16_e32 v6, v22, v6
	v_add_f16_e32 v7, v23, v7
	v_mul_f16_e32 v8, 0x3a52, v8
	v_mul_f16_e32 v9, 0x3a52, v9
	;; [unrolled: 1-line block ×7, first 2 shown]
	v_add_f16_e32 v2, v2, v16
	v_add_f16_e32 v4, v4, v17
	v_mul_f16_e32 v25, 0x3b00, v12
	v_fmamk_f16 v14, v14, 0x2b26, v8
	v_fmamk_f16 v15, v15, 0x2b26, v9
	v_fma_f16 v18, v20, 0x39e0, -v18
	v_fma_f16 v19, v21, 0x39e0, -v19
	;; [unrolled: 1-line block ×4, first 2 shown]
	v_fmamk_f16 v20, v5, 0x3574, v22
	v_fmamk_f16 v21, v13, 0x3574, v23
	v_fma_f16 v3, v3, 0x3b00, -v22
	v_fma_f16 v5, v5, 0xb574, -v24
	v_fmamk_f16 v16, v16, 0xbcab, v2
	v_fmamk_f16 v17, v17, 0xbcab, v4
	v_fma_f16 v13, v13, 0xb574, -v25
	v_fma_f16 v12, v12, 0x3b00, -v23
	v_fmac_f16_e32 v20, 0x370e, v6
	v_fmac_f16_e32 v21, 0x370e, v7
	;; [unrolled: 1-line block ×4, first 2 shown]
	v_pack_b32_f16 v2, v2, v4
	v_add_f16_e32 v4, v14, v16
	v_add_f16_e32 v6, v15, v17
	v_fmac_f16_e32 v13, 0x370e, v7
	v_add_f16_e32 v8, v8, v16
	v_add_f16_e32 v9, v9, v17
	v_fmac_f16_e32 v12, 0x370e, v7
	v_add_f16_e32 v7, v18, v16
	v_add_f16_e32 v14, v19, v17
	global_store_dword v[26:27], v2, off
	v_add_f16_e32 v2, v21, v4
	v_sub_f16_e32 v15, v6, v20
	v_add_f16_e32 v16, v13, v8
	v_sub_f16_e32 v17, v9, v5
	v_sub_f16_e32 v18, v7, v12
	v_add_f16_e32 v19, v3, v14
	v_add_f16_e32 v7, v12, v7
	v_sub_f16_e32 v3, v14, v3
	v_sub_f16_e32 v8, v8, v13
	v_add_f16_e32 v5, v5, v9
	v_sub_f16_e32 v4, v4, v21
	v_add_f16_e32 v6, v20, v6
	v_pack_b32_f16 v2, v2, v15
	v_pack_b32_f16 v9, v16, v17
	;; [unrolled: 1-line block ×6, first 2 shown]
	global_store_dword v[28:29], v2, off
	global_store_dword v[30:31], v9, off
	;; [unrolled: 1-line block ×6, first 2 shown]
.LBB0_20:
	s_endpgm
	.section	.rodata,"a",@progbits
	.p2align	6, 0x0
	.amdhsa_kernel fft_rtc_fwd_len1792_factors_4_4_4_4_7_wgs_224_tpt_224_halfLds_half_op_CI_CI_unitstride_sbrr_dirReg
		.amdhsa_group_segment_fixed_size 0
		.amdhsa_private_segment_fixed_size 0
		.amdhsa_kernarg_size 104
		.amdhsa_user_sgpr_count 6
		.amdhsa_user_sgpr_private_segment_buffer 1
		.amdhsa_user_sgpr_dispatch_ptr 0
		.amdhsa_user_sgpr_queue_ptr 0
		.amdhsa_user_sgpr_kernarg_segment_ptr 1
		.amdhsa_user_sgpr_dispatch_id 0
		.amdhsa_user_sgpr_flat_scratch_init 0
		.amdhsa_user_sgpr_private_segment_size 0
		.amdhsa_wavefront_size32 1
		.amdhsa_uses_dynamic_stack 0
		.amdhsa_system_sgpr_private_segment_wavefront_offset 0
		.amdhsa_system_sgpr_workgroup_id_x 1
		.amdhsa_system_sgpr_workgroup_id_y 0
		.amdhsa_system_sgpr_workgroup_id_z 0
		.amdhsa_system_sgpr_workgroup_info 0
		.amdhsa_system_vgpr_workitem_id 0
		.amdhsa_next_free_vgpr 63
		.amdhsa_next_free_sgpr 27
		.amdhsa_reserve_vcc 1
		.amdhsa_reserve_flat_scratch 0
		.amdhsa_float_round_mode_32 0
		.amdhsa_float_round_mode_16_64 0
		.amdhsa_float_denorm_mode_32 3
		.amdhsa_float_denorm_mode_16_64 3
		.amdhsa_dx10_clamp 1
		.amdhsa_ieee_mode 1
		.amdhsa_fp16_overflow 0
		.amdhsa_workgroup_processor_mode 1
		.amdhsa_memory_ordered 1
		.amdhsa_forward_progress 0
		.amdhsa_shared_vgpr_count 0
		.amdhsa_exception_fp_ieee_invalid_op 0
		.amdhsa_exception_fp_denorm_src 0
		.amdhsa_exception_fp_ieee_div_zero 0
		.amdhsa_exception_fp_ieee_overflow 0
		.amdhsa_exception_fp_ieee_underflow 0
		.amdhsa_exception_fp_ieee_inexact 0
		.amdhsa_exception_int_div_zero 0
	.end_amdhsa_kernel
	.text
.Lfunc_end0:
	.size	fft_rtc_fwd_len1792_factors_4_4_4_4_7_wgs_224_tpt_224_halfLds_half_op_CI_CI_unitstride_sbrr_dirReg, .Lfunc_end0-fft_rtc_fwd_len1792_factors_4_4_4_4_7_wgs_224_tpt_224_halfLds_half_op_CI_CI_unitstride_sbrr_dirReg
                                        ; -- End function
	.section	.AMDGPU.csdata,"",@progbits
; Kernel info:
; codeLenInByte = 6460
; NumSgprs: 29
; NumVgprs: 63
; ScratchSize: 0
; MemoryBound: 0
; FloatMode: 240
; IeeeMode: 1
; LDSByteSize: 0 bytes/workgroup (compile time only)
; SGPRBlocks: 3
; VGPRBlocks: 7
; NumSGPRsForWavesPerEU: 29
; NumVGPRsForWavesPerEU: 63
; Occupancy: 16
; WaveLimiterHint : 1
; COMPUTE_PGM_RSRC2:SCRATCH_EN: 0
; COMPUTE_PGM_RSRC2:USER_SGPR: 6
; COMPUTE_PGM_RSRC2:TRAP_HANDLER: 0
; COMPUTE_PGM_RSRC2:TGID_X_EN: 1
; COMPUTE_PGM_RSRC2:TGID_Y_EN: 0
; COMPUTE_PGM_RSRC2:TGID_Z_EN: 0
; COMPUTE_PGM_RSRC2:TIDIG_COMP_CNT: 0
	.text
	.p2alignl 6, 3214868480
	.fill 48, 4, 3214868480
	.type	__hip_cuid_c625fc6ffbcb6831,@object ; @__hip_cuid_c625fc6ffbcb6831
	.section	.bss,"aw",@nobits
	.globl	__hip_cuid_c625fc6ffbcb6831
__hip_cuid_c625fc6ffbcb6831:
	.byte	0                               ; 0x0
	.size	__hip_cuid_c625fc6ffbcb6831, 1

	.ident	"AMD clang version 19.0.0git (https://github.com/RadeonOpenCompute/llvm-project roc-6.4.0 25133 c7fe45cf4b819c5991fe208aaa96edf142730f1d)"
	.section	".note.GNU-stack","",@progbits
	.addrsig
	.addrsig_sym __hip_cuid_c625fc6ffbcb6831
	.amdgpu_metadata
---
amdhsa.kernels:
  - .args:
      - .actual_access:  read_only
        .address_space:  global
        .offset:         0
        .size:           8
        .value_kind:     global_buffer
      - .offset:         8
        .size:           8
        .value_kind:     by_value
      - .actual_access:  read_only
        .address_space:  global
        .offset:         16
        .size:           8
        .value_kind:     global_buffer
      - .actual_access:  read_only
        .address_space:  global
        .offset:         24
        .size:           8
        .value_kind:     global_buffer
      - .actual_access:  read_only
        .address_space:  global
        .offset:         32
        .size:           8
        .value_kind:     global_buffer
      - .offset:         40
        .size:           8
        .value_kind:     by_value
      - .actual_access:  read_only
        .address_space:  global
        .offset:         48
        .size:           8
        .value_kind:     global_buffer
      - .actual_access:  read_only
        .address_space:  global
        .offset:         56
        .size:           8
        .value_kind:     global_buffer
      - .offset:         64
        .size:           4
        .value_kind:     by_value
      - .actual_access:  read_only
        .address_space:  global
        .offset:         72
        .size:           8
        .value_kind:     global_buffer
      - .actual_access:  read_only
        .address_space:  global
        .offset:         80
        .size:           8
        .value_kind:     global_buffer
      - .actual_access:  read_only
        .address_space:  global
        .offset:         88
        .size:           8
        .value_kind:     global_buffer
      - .actual_access:  write_only
        .address_space:  global
        .offset:         96
        .size:           8
        .value_kind:     global_buffer
    .group_segment_fixed_size: 0
    .kernarg_segment_align: 8
    .kernarg_segment_size: 104
    .language:       OpenCL C
    .language_version:
      - 2
      - 0
    .max_flat_workgroup_size: 224
    .name:           fft_rtc_fwd_len1792_factors_4_4_4_4_7_wgs_224_tpt_224_halfLds_half_op_CI_CI_unitstride_sbrr_dirReg
    .private_segment_fixed_size: 0
    .sgpr_count:     29
    .sgpr_spill_count: 0
    .symbol:         fft_rtc_fwd_len1792_factors_4_4_4_4_7_wgs_224_tpt_224_halfLds_half_op_CI_CI_unitstride_sbrr_dirReg.kd
    .uniform_work_group_size: 1
    .uses_dynamic_stack: false
    .vgpr_count:     63
    .vgpr_spill_count: 0
    .wavefront_size: 32
    .workgroup_processor_mode: 1
amdhsa.target:   amdgcn-amd-amdhsa--gfx1030
amdhsa.version:
  - 1
  - 2
...

	.end_amdgpu_metadata
